;; amdgpu-corpus repo=ROCm/rocFFT kind=compiled arch=gfx906 opt=O3
	.text
	.amdgcn_target "amdgcn-amd-amdhsa--gfx906"
	.amdhsa_code_object_version 6
	.protected	bluestein_single_fwd_len625_dim1_dp_op_CI_CI ; -- Begin function bluestein_single_fwd_len625_dim1_dp_op_CI_CI
	.globl	bluestein_single_fwd_len625_dim1_dp_op_CI_CI
	.p2align	8
	.type	bluestein_single_fwd_len625_dim1_dp_op_CI_CI,@function
bluestein_single_fwd_len625_dim1_dp_op_CI_CI: ; @bluestein_single_fwd_len625_dim1_dp_op_CI_CI
; %bb.0:
	s_load_dwordx4 s[12:15], s[4:5], 0x28
	v_mul_u32_u24_e32 v1, 0x20d, v0
	v_add_u32_sdwa v100, s6, v1 dst_sel:DWORD dst_unused:UNUSED_PAD src0_sel:DWORD src1_sel:WORD_1
	v_mov_b32_e32 v101, 0
	s_waitcnt lgkmcnt(0)
	v_cmp_gt_u64_e32 vcc, s[12:13], v[100:101]
	s_and_saveexec_b64 s[0:1], vcc
	s_cbranch_execz .LBB0_2
; %bb.1:
	s_load_dwordx4 s[0:3], s[4:5], 0x18
	s_load_dwordx4 s[8:11], s[4:5], 0x0
	s_movk_i32 s6, 0x1000
	s_mov_b32 s12, 0x372fe950
	s_mov_b32 s13, 0x3fd3c6ef
	s_waitcnt lgkmcnt(0)
	s_load_dwordx4 s[16:19], s[0:1], 0x0
	s_movk_i32 s0, 0x7d
	v_mul_lo_u16_sdwa v1, v1, s0 dst_sel:DWORD dst_unused:UNUSED_PAD src0_sel:WORD_1 src1_sel:DWORD
	v_sub_u16_e32 v108, v0, v1
	v_lshlrev_b32_e32 v107, 4, v108
	s_waitcnt lgkmcnt(0)
	v_mad_u64_u32 v[0:1], s[0:1], s18, v100, 0
	v_mad_u64_u32 v[2:3], s[0:1], s16, v108, 0
	s_movk_i32 s18, 0xcd
	v_lshlrev_b32_e32 v112, 6, v108
	v_mad_u64_u32 v[4:5], s[0:1], s19, v100, v[1:2]
	v_mad_u64_u32 v[5:6], s[0:1], s17, v108, v[3:4]
	v_mov_b32_e32 v1, v4
	v_lshlrev_b64 v[0:1], 4, v[0:1]
	v_mov_b32_e32 v6, s15
	v_mov_b32_e32 v3, v5
	v_add_co_u32_e32 v4, vcc, s14, v0
	v_addc_co_u32_e32 v5, vcc, v6, v1, vcc
	v_lshlrev_b64 v[0:1], 4, v[2:3]
	v_mov_b32_e32 v2, s9
	v_add_co_u32_e32 v0, vcc, v4, v0
	v_addc_co_u32_e32 v1, vcc, v5, v1, vcc
	v_add_co_u32_e32 v76, vcc, s8, v107
	s_mul_i32 s0, s17, 0x7d0
	s_mul_hi_u32 s1, s16, 0x7d0
	v_addc_co_u32_e32 v77, vcc, 0, v2, vcc
	s_add_i32 s0, s1, s0
	s_mul_i32 s1, s16, 0x7d0
	v_mov_b32_e32 v2, s0
	v_add_co_u32_e32 v12, vcc, s1, v0
	v_addc_co_u32_e32 v13, vcc, v1, v2, vcc
	v_mov_b32_e32 v8, s0
	v_add_co_u32_e32 v14, vcc, s1, v12
	v_addc_co_u32_e32 v15, vcc, v13, v8, vcc
	global_load_dwordx4 v[20:23], v[0:1], off
	s_nop 0
	global_load_dwordx4 v[0:3], v107, s[8:9]
	global_load_dwordx4 v[4:7], v107, s[8:9] offset:2000
	global_load_dwordx4 v[24:27], v[12:13], off
	global_load_dwordx4 v[28:31], v[14:15], off
	global_load_dwordx4 v[8:11], v107, s[8:9] offset:4000
	v_mov_b32_e32 v13, s0
	v_add_co_u32_e32 v12, vcc, s1, v14
	v_addc_co_u32_e32 v13, vcc, v15, v13, vcc
	v_add_co_u32_e32 v40, vcc, s6, v76
	v_addc_co_u32_e32 v41, vcc, 0, v77, vcc
	global_load_dwordx4 v[32:35], v[12:13], off
	v_mov_b32_e32 v14, s0
	v_add_co_u32_e32 v42, vcc, s1, v12
	v_addc_co_u32_e32 v43, vcc, v13, v14, vcc
	global_load_dwordx4 v[12:15], v[40:41], off offset:1904
	global_load_dwordx4 v[16:19], v[40:41], off offset:3904
	global_load_dwordx4 v[36:39], v[42:43], off
	s_load_dwordx4 s[0:3], s[2:3], 0x0
	s_mov_b32 s8, 0x134454ff
	s_mov_b32 s9, 0x3fee6f0e
	;; [unrolled: 1-line block ×8, first 2 shown]
	s_waitcnt vmcnt(8)
	v_mul_f64 v[40:41], v[22:23], v[2:3]
	v_mul_f64 v[42:43], v[20:21], v[2:3]
	s_waitcnt vmcnt(6)
	v_mul_f64 v[44:45], v[26:27], v[6:7]
	v_mul_f64 v[46:47], v[24:25], v[6:7]
	;; [unrolled: 3-line block ×3, first 2 shown]
	v_fma_f64 v[20:21], v[20:21], v[0:1], v[40:41]
	v_fma_f64 v[22:23], v[22:23], v[0:1], -v[42:43]
	v_fma_f64 v[24:25], v[24:25], v[4:5], v[44:45]
	v_fma_f64 v[26:27], v[26:27], v[4:5], -v[46:47]
	;; [unrolled: 2-line block ×3, first 2 shown]
	s_waitcnt vmcnt(2)
	v_mul_f64 v[52:53], v[34:35], v[14:15]
	v_mul_f64 v[54:55], v[32:33], v[14:15]
	s_waitcnt vmcnt(0)
	v_mul_f64 v[56:57], v[38:39], v[18:19]
	v_mul_f64 v[58:59], v[36:37], v[18:19]
	v_fma_f64 v[32:33], v[32:33], v[12:13], v[52:53]
	v_fma_f64 v[34:35], v[34:35], v[12:13], -v[54:55]
	v_fma_f64 v[36:37], v[36:37], v[16:17], v[56:57]
	v_fma_f64 v[38:39], v[38:39], v[16:17], -v[58:59]
	ds_write_b128 v107, v[20:23]
	ds_write_b128 v107, v[24:27] offset:2000
	ds_write_b128 v107, v[28:31] offset:4000
	;; [unrolled: 1-line block ×4, first 2 shown]
	s_waitcnt lgkmcnt(0)
	s_barrier
	ds_read_b128 v[20:23], v107
	ds_read_b128 v[24:27], v107 offset:2000
	ds_read_b128 v[28:31], v107 offset:4000
	;; [unrolled: 1-line block ×4, first 2 shown]
	s_waitcnt lgkmcnt(0)
	v_add_f64 v[40:41], v[20:21], v[24:25]
	v_add_f64 v[48:49], v[24:25], -v[28:29]
	v_add_f64 v[42:43], v[28:29], v[32:33]
	v_add_f64 v[50:51], v[36:37], -v[32:33]
	v_add_f64 v[52:53], v[22:23], v[26:27]
	v_add_f64 v[60:61], v[30:31], v[34:35]
	;; [unrolled: 1-line block ×3, first 2 shown]
	v_add_f64 v[56:57], v[28:29], -v[24:25]
	v_add_f64 v[68:69], v[24:25], -v[36:37]
	v_add_f64 v[24:25], v[26:27], v[38:39]
	v_add_f64 v[44:45], v[26:27], -v[38:39]
	v_add_f64 v[46:47], v[30:31], -v[34:35]
	;; [unrolled: 1-line block ×6, first 2 shown]
	v_add_f64 v[28:29], v[40:41], v[28:29]
	v_fma_f64 v[40:41], v[42:43], -0.5, v[20:21]
	v_add_f64 v[30:31], v[52:53], v[30:31]
	v_add_f64 v[42:43], v[48:49], v[50:51]
	v_fma_f64 v[50:51], v[60:61], -0.5, v[22:23]
	v_fma_f64 v[20:21], v[54:55], -0.5, v[20:21]
	;; [unrolled: 1-line block ×3, first 2 shown]
	v_add_f64 v[70:71], v[34:35], -v[38:39]
	v_add_f64 v[52:53], v[64:65], v[26:27]
	v_fma_f64 v[24:25], v[44:45], s[8:9], v[40:41]
	v_add_f64 v[26:27], v[28:29], v[32:33]
	v_fma_f64 v[28:29], v[44:45], s[14:15], v[40:41]
	;; [unrolled: 2-line block ×3, first 2 shown]
	v_add_f64 v[58:59], v[32:33], -v[36:37]
	v_fma_f64 v[32:33], v[46:47], s[14:15], v[20:21]
	v_fma_f64 v[40:41], v[46:47], s[8:9], v[20:21]
	;; [unrolled: 1-line block ×6, first 2 shown]
	v_add_f64 v[20:21], v[26:27], v[36:37]
	v_fma_f64 v[26:27], v[46:47], s[16:17], v[28:29]
	v_fma_f64 v[34:35], v[62:63], s[16:17], v[34:35]
	v_add_f64 v[48:49], v[56:57], v[58:59]
	v_fma_f64 v[32:33], v[44:45], s[6:7], v[32:33]
	v_fma_f64 v[36:37], v[44:45], s[16:17], v[40:41]
	v_fma_f64 v[44:45], v[68:69], s[16:17], v[54:55]
	v_add_f64 v[46:47], v[66:67], v[70:71]
	v_fma_f64 v[40:41], v[62:63], s[6:7], v[50:51]
	v_fma_f64 v[50:51], v[68:69], s[6:7], v[22:23]
	v_add_f64 v[22:23], v[30:31], v[38:39]
	v_fma_f64 v[24:25], v[42:43], s[12:13], v[24:25]
	v_fma_f64 v[28:29], v[42:43], s[12:13], v[26:27]
	;; [unrolled: 1-line block ×8, first 2 shown]
	v_mul_lo_u16_e32 v40, 5, v108
	v_lshlrev_b32_e32 v109, 4, v40
	s_barrier
	ds_write_b128 v109, v[20:23]
	ds_write_b128 v109, v[24:27] offset:16
	ds_write_b128 v109, v[32:35] offset:32
	;; [unrolled: 1-line block ×4, first 2 shown]
	v_mul_lo_u16_sdwa v20, v108, s18 dst_sel:DWORD dst_unused:UNUSED_PAD src0_sel:BYTE_0 src1_sel:DWORD
	v_lshrrev_b16_e32 v36, 10, v20
	v_mul_lo_u16_e32 v20, 5, v36
	v_sub_u16_e32 v20, v108, v20
	v_and_b32_e32 v72, 0xff, v20
	v_lshlrev_b32_e32 v37, 6, v72
	s_waitcnt lgkmcnt(0)
	s_barrier
	global_load_dwordx4 v[32:35], v37, s[10:11]
	global_load_dwordx4 v[28:31], v37, s[10:11] offset:16
	global_load_dwordx4 v[24:27], v37, s[10:11] offset:32
	;; [unrolled: 1-line block ×3, first 2 shown]
	v_mov_b32_e32 v37, 41
	v_mul_lo_u16_sdwa v37, v108, v37 dst_sel:DWORD dst_unused:UNUSED_PAD src0_sel:BYTE_0 src1_sel:DWORD
	v_lshrrev_b16_e32 v90, 10, v37
	v_mul_u32_u24_e32 v73, 25, v36
	ds_read_b128 v[36:39], v107 offset:2000
	ds_read_b128 v[40:43], v107 offset:4000
	;; [unrolled: 1-line block ×4, first 2 shown]
	ds_read_b128 v[52:55], v107
	v_mul_lo_u16_e32 v74, 25, v90
	v_add_lshl_u32 v110, v73, v72, 4
	s_waitcnt vmcnt(0) lgkmcnt(0)
	s_barrier
	s_movk_i32 s18, 0x3000
	v_mul_f64 v[56:57], v[38:39], v[34:35]
	v_mul_f64 v[58:59], v[36:37], v[34:35]
	;; [unrolled: 1-line block ×8, first 2 shown]
	v_fma_f64 v[36:37], v[36:37], v[32:33], -v[56:57]
	v_fma_f64 v[38:39], v[38:39], v[32:33], v[58:59]
	v_fma_f64 v[40:41], v[40:41], v[28:29], -v[60:61]
	v_fma_f64 v[42:43], v[42:43], v[28:29], v[62:63]
	v_fma_f64 v[44:45], v[44:45], v[24:25], -v[64:65]
	v_fma_f64 v[48:49], v[48:49], v[20:21], -v[66:67]
	v_fma_f64 v[46:47], v[46:47], v[24:25], v[68:69]
	v_fma_f64 v[50:51], v[50:51], v[20:21], v[70:71]
	v_sub_u16_e32 v56, v108, v74
	v_and_b32_e32 v91, 0xff, v56
	v_add_f64 v[56:57], v[40:41], -v[36:37]
	v_add_f64 v[60:61], v[42:43], -v[38:39]
	v_add_f64 v[78:79], v[40:41], v[44:45]
	v_add_f64 v[58:59], v[44:45], -v[48:49]
	v_add_f64 v[64:65], v[36:37], v[48:49]
	;; [unrolled: 2-line block ×3, first 2 shown]
	v_add_f64 v[80:81], v[42:43], v[46:47]
	v_add_f64 v[82:83], v[52:53], v[36:37]
	v_add_f64 v[84:85], v[54:55], v[38:39]
	v_add_f64 v[68:69], v[42:43], -v[46:47]
	v_add_f64 v[70:71], v[38:39], -v[50:51]
	;; [unrolled: 1-line block ×7, first 2 shown]
	v_add_f64 v[56:57], v[56:57], v[58:59]
	v_add_f64 v[58:59], v[60:61], v[62:63]
	v_fma_f64 v[60:61], v[64:65], -0.5, v[52:53]
	v_fma_f64 v[62:63], v[66:67], -0.5, v[54:55]
	;; [unrolled: 1-line block ×4, first 2 shown]
	v_add_f64 v[40:41], v[82:83], v[40:41]
	v_add_f64 v[42:43], v[84:85], v[42:43]
	v_add_f64 v[88:89], v[50:51], -v[46:47]
	v_add_f64 v[64:65], v[36:37], v[86:87]
	v_fma_f64 v[36:37], v[68:69], s[14:15], v[60:61]
	v_fma_f64 v[60:61], v[68:69], s[8:9], v[60:61]
	v_lshlrev_b32_e32 v92, 6, v91
	v_add_f64 v[40:41], v[40:41], v[44:45]
	v_add_f64 v[42:43], v[42:43], v[46:47]
	v_fma_f64 v[44:45], v[70:71], s[8:9], v[52:53]
	v_fma_f64 v[46:47], v[70:71], s[14:15], v[52:53]
	;; [unrolled: 1-line block ×3, first 2 shown]
	v_add_f64 v[66:67], v[38:39], v[88:89]
	v_fma_f64 v[38:39], v[72:73], s[8:9], v[62:63]
	v_fma_f64 v[62:63], v[72:73], s[14:15], v[62:63]
	;; [unrolled: 1-line block ×4, first 2 shown]
	v_add_f64 v[36:37], v[40:41], v[48:49]
	v_fma_f64 v[48:49], v[68:69], s[6:7], v[44:45]
	v_fma_f64 v[52:53], v[72:73], s[16:17], v[52:53]
	;; [unrolled: 1-line block ×7, first 2 shown]
	v_add_f64 v[38:39], v[42:43], v[50:51]
	v_fma_f64 v[48:49], v[64:65], s[12:13], v[48:49]
	v_fma_f64 v[50:51], v[66:67], s[12:13], v[52:53]
	;; [unrolled: 1-line block ×8, first 2 shown]
	ds_write_b128 v110, v[36:39]
	ds_write_b128 v110, v[48:51] offset:80
	ds_write_b128 v110, v[40:43] offset:160
	;; [unrolled: 1-line block ×4, first 2 shown]
	s_waitcnt lgkmcnt(0)
	s_barrier
	global_load_dwordx4 v[44:47], v92, s[10:11] offset:320
	global_load_dwordx4 v[40:43], v92, s[10:11] offset:336
	;; [unrolled: 1-line block ×4, first 2 shown]
	ds_read_b128 v[52:55], v107 offset:2000
	ds_read_b128 v[56:59], v107 offset:4000
	;; [unrolled: 1-line block ×4, first 2 shown]
	ds_read_b128 v[68:71], v107
	s_waitcnt vmcnt(0) lgkmcnt(0)
	s_barrier
	v_mul_f64 v[72:73], v[54:55], v[46:47]
	v_mul_f64 v[74:75], v[52:53], v[46:47]
	;; [unrolled: 1-line block ×8, first 2 shown]
	v_fma_f64 v[52:53], v[52:53], v[44:45], -v[72:73]
	v_fma_f64 v[54:55], v[54:55], v[44:45], v[74:75]
	v_fma_f64 v[56:57], v[56:57], v[40:41], -v[78:79]
	v_fma_f64 v[58:59], v[58:59], v[40:41], v[80:81]
	v_fma_f64 v[60:61], v[60:61], v[36:37], -v[82:83]
	v_fma_f64 v[64:65], v[64:65], v[48:49], -v[84:85]
	v_fma_f64 v[62:63], v[62:63], v[36:37], v[86:87]
	v_fma_f64 v[66:67], v[66:67], v[48:49], v[88:89]
	v_mul_u32_u24_e32 v72, 0x7d, v90
	v_add_lshl_u32 v111, v72, v91, 4
	v_add_f64 v[72:73], v[52:53], -v[56:57]
	v_add_f64 v[78:79], v[54:55], -v[58:59]
	v_add_f64 v[82:83], v[56:57], v[60:61]
	v_add_f64 v[74:75], v[64:65], -v[60:61]
	v_add_f64 v[84:85], v[58:59], v[62:63]
	;; [unrolled: 2-line block ×3, first 2 shown]
	v_add_f64 v[96:97], v[54:55], v[66:67]
	v_add_f64 v[98:99], v[68:69], v[52:53]
	;; [unrolled: 1-line block ×3, first 2 shown]
	v_add_f64 v[86:87], v[54:55], -v[66:67]
	v_add_f64 v[90:91], v[52:53], -v[64:65]
	;; [unrolled: 1-line block ×6, first 2 shown]
	v_add_f64 v[72:73], v[72:73], v[74:75]
	v_add_f64 v[74:75], v[78:79], v[80:81]
	v_fma_f64 v[78:79], v[82:83], -0.5, v[68:69]
	v_fma_f64 v[80:81], v[84:85], -0.5, v[70:71]
	v_add_f64 v[88:89], v[58:59], -v[62:63]
	v_add_f64 v[92:93], v[56:57], -v[60:61]
	v_fma_f64 v[68:69], v[94:95], -0.5, v[68:69]
	v_fma_f64 v[70:71], v[96:97], -0.5, v[70:71]
	v_add_f64 v[56:57], v[98:99], v[56:57]
	v_add_f64 v[58:59], v[101:102], v[58:59]
	;; [unrolled: 1-line block ×4, first 2 shown]
	v_fma_f64 v[52:53], v[86:87], s[8:9], v[78:79]
	v_fma_f64 v[54:55], v[90:91], s[14:15], v[80:81]
	;; [unrolled: 1-line block ×4, first 2 shown]
	v_add_f64 v[56:57], v[56:57], v[60:61]
	v_add_f64 v[58:59], v[58:59], v[62:63]
	v_fma_f64 v[60:61], v[88:89], s[14:15], v[68:69]
	v_fma_f64 v[62:63], v[88:89], s[8:9], v[68:69]
	v_fma_f64 v[68:69], v[92:93], s[8:9], v[70:71]
	v_fma_f64 v[70:71], v[92:93], s[14:15], v[70:71]
	v_fma_f64 v[94:95], v[88:89], s[6:7], v[52:53]
	v_fma_f64 v[96:97], v[92:93], s[16:17], v[54:55]
	v_add_f64 v[52:53], v[56:57], v[64:65]
	v_fma_f64 v[78:79], v[88:89], s[16:17], v[78:79]
	v_fma_f64 v[64:65], v[86:87], s[6:7], v[60:61]
	v_fma_f64 v[62:63], v[86:87], s[16:17], v[62:63]
	v_fma_f64 v[68:69], v[90:91], s[16:17], v[68:69]
	v_fma_f64 v[70:71], v[90:91], s[6:7], v[70:71]
	v_fma_f64 v[80:81], v[92:93], s[6:7], v[80:81]
	;; [unrolled: 7-line block ×3, first 2 shown]
	v_fma_f64 v[70:71], v[84:85], s[12:13], v[70:71]
	v_fma_f64 v[62:63], v[74:75], s[12:13], v[80:81]
	ds_write_b128 v111, v[52:55]
	ds_write_b128 v111, v[56:59] offset:400
	ds_write_b128 v111, v[64:67] offset:800
	;; [unrolled: 1-line block ×4, first 2 shown]
	s_waitcnt lgkmcnt(0)
	s_barrier
	global_load_dwordx4 v[56:59], v112, s[10:11] offset:1920
	global_load_dwordx4 v[60:63], v112, s[10:11] offset:1936
	;; [unrolled: 1-line block ×4, first 2 shown]
	ds_read_b128 v[68:71], v107 offset:2000
	ds_read_b128 v[72:75], v107 offset:4000
	;; [unrolled: 1-line block ×4, first 2 shown]
	ds_read_b128 v[86:89], v107
	s_movk_i32 s10, 0x2000
	s_movk_i32 s11, 0x2710
	s_waitcnt vmcnt(3) lgkmcnt(4)
	v_mul_f64 v[90:91], v[70:71], v[58:59]
	v_mul_f64 v[92:93], v[68:69], v[58:59]
	s_waitcnt vmcnt(2) lgkmcnt(3)
	v_mul_f64 v[94:95], v[74:75], v[62:63]
	v_mul_f64 v[96:97], v[72:73], v[62:63]
	s_waitcnt vmcnt(1) lgkmcnt(2)
	v_mul_f64 v[98:99], v[80:81], v[66:67]
	s_waitcnt vmcnt(0) lgkmcnt(1)
	v_mul_f64 v[101:102], v[84:85], v[54:55]
	v_mul_f64 v[103:104], v[78:79], v[66:67]
	;; [unrolled: 1-line block ×3, first 2 shown]
	v_fma_f64 v[68:69], v[68:69], v[56:57], -v[90:91]
	v_fma_f64 v[70:71], v[70:71], v[56:57], v[92:93]
	v_fma_f64 v[72:73], v[72:73], v[60:61], -v[94:95]
	v_fma_f64 v[74:75], v[74:75], v[60:61], v[96:97]
	v_fma_f64 v[78:79], v[78:79], v[64:65], -v[98:99]
	v_fma_f64 v[82:83], v[82:83], v[52:53], -v[101:102]
	v_fma_f64 v[80:81], v[80:81], v[64:65], v[103:104]
	v_fma_f64 v[84:85], v[84:85], v[52:53], v[105:106]
	s_waitcnt lgkmcnt(0)
	v_add_f64 v[116:117], v[86:87], v[68:69]
	v_add_f64 v[118:119], v[88:89], v[70:71]
	v_add_f64 v[90:91], v[72:73], -v[68:69]
	v_add_f64 v[94:95], v[74:75], -v[70:71]
	v_add_f64 v[112:113], v[72:73], v[78:79]
	v_add_f64 v[92:93], v[78:79], -v[82:83]
	v_add_f64 v[98:99], v[68:69], v[82:83]
	v_add_f64 v[101:102], v[70:71], v[84:85]
	;; [unrolled: 1-line block ×3, first 2 shown]
	v_add_f64 v[96:97], v[80:81], -v[84:85]
	v_add_f64 v[103:104], v[74:75], -v[80:81]
	;; [unrolled: 1-line block ×5, first 2 shown]
	v_fma_f64 v[98:99], v[98:99], -0.5, v[86:87]
	v_fma_f64 v[101:102], v[101:102], -0.5, v[88:89]
	;; [unrolled: 1-line block ×4, first 2 shown]
	v_add_f64 v[112:113], v[82:83], -v[78:79]
	v_add_f64 v[114:115], v[84:85], -v[80:81]
	v_add_f64 v[90:91], v[90:91], v[92:93]
	v_add_f64 v[92:93], v[72:73], -v[78:79]
	v_add_f64 v[68:69], v[68:69], -v[82:83]
	v_add_f64 v[72:73], v[116:117], v[72:73]
	v_add_f64 v[74:75], v[118:119], v[74:75]
	;; [unrolled: 1-line block ×5, first 2 shown]
	v_fma_f64 v[70:71], v[103:104], s[14:15], v[98:99]
	v_fma_f64 v[114:115], v[92:93], s[8:9], v[101:102]
	;; [unrolled: 1-line block ×3, first 2 shown]
	v_add_f64 v[72:73], v[72:73], v[78:79]
	v_add_f64 v[74:75], v[74:75], v[80:81]
	v_fma_f64 v[78:79], v[105:106], s[8:9], v[86:87]
	v_fma_f64 v[80:81], v[105:106], s[14:15], v[86:87]
	;; [unrolled: 1-line block ×8, first 2 shown]
	v_add_f64 v[68:69], v[72:73], v[82:83]
	v_add_f64 v[70:71], v[74:75], v[84:85]
	v_fma_f64 v[82:83], v[103:104], s[6:7], v[78:79]
	v_fma_f64 v[84:85], v[92:93], s[16:17], v[86:87]
	;; [unrolled: 1-line block ×13, first 2 shown]
	v_add_co_u32_e32 v90, vcc, s10, v76
	v_addc_co_u32_e32 v91, vcc, 0, v77, vcc
	ds_write_b128 v107, v[68:71]
	ds_write_b128 v107, v[82:85] offset:2000
	ds_write_b128 v107, v[72:75] offset:4000
	;; [unrolled: 1-line block ×4, first 2 shown]
	s_waitcnt lgkmcnt(0)
	s_barrier
	global_load_dwordx4 v[82:85], v[90:91], off offset:1808
	v_add_co_u32_e32 v78, vcc, s11, v76
	v_addc_co_u32_e32 v79, vcc, 0, v77, vcc
	global_load_dwordx4 v[112:115], v[78:79], off offset:2000
	v_add_co_u32_e32 v80, vcc, s18, v76
	s_movk_i32 s10, 0x4000
	v_addc_co_u32_e32 v81, vcc, 0, v77, vcc
	v_add_co_u32_e32 v76, vcc, s10, v76
	global_load_dwordx4 v[72:75], v[78:79], off offset:4000
	global_load_dwordx4 v[68:71], v[80:81], off offset:3712
	v_addc_co_u32_e32 v77, vcc, 0, v77, vcc
	global_load_dwordx4 v[76:79], v[76:77], off offset:1616
	ds_read_b128 v[88:91], v107
	ds_read_b128 v[116:119], v107 offset:2000
	s_load_dwordx2 s[10:11], s[4:5], 0x38
	s_mov_b32 s4, 0xeb1c432d
	s_mov_b32 s5, 0x3f5a36e2
	s_waitcnt vmcnt(4) lgkmcnt(0)
	v_mul_f64 v[80:81], v[90:91], v[84:85]
	v_mul_f64 v[96:97], v[88:89], v[84:85]
	ds_read_b128 v[92:95], v107 offset:4000
	ds_read_b128 v[84:87], v107 offset:6000
	s_waitcnt vmcnt(3)
	v_mul_f64 v[105:106], v[118:119], v[114:115]
	v_mul_f64 v[114:115], v[116:117], v[114:115]
	v_fma_f64 v[80:81], v[88:89], v[82:83], -v[80:81]
	v_fma_f64 v[82:83], v[90:91], v[82:83], v[96:97]
	ds_read_b128 v[96:99], v107 offset:8000
	s_waitcnt vmcnt(2) lgkmcnt(2)
	v_mul_f64 v[101:102], v[94:95], v[74:75]
	v_mul_f64 v[74:75], v[92:93], v[74:75]
	s_waitcnt vmcnt(1) lgkmcnt(1)
	v_mul_f64 v[103:104], v[86:87], v[70:71]
	v_mul_f64 v[70:71], v[84:85], v[70:71]
	v_fma_f64 v[88:89], v[116:117], v[112:113], -v[105:106]
	s_waitcnt vmcnt(0) lgkmcnt(0)
	v_mul_f64 v[105:106], v[98:99], v[78:79]
	v_mul_f64 v[78:79], v[96:97], v[78:79]
	v_fma_f64 v[90:91], v[118:119], v[112:113], v[114:115]
	v_fma_f64 v[92:93], v[92:93], v[72:73], -v[101:102]
	v_fma_f64 v[94:95], v[94:95], v[72:73], v[74:75]
	v_fma_f64 v[72:73], v[84:85], v[68:69], -v[103:104]
	v_fma_f64 v[74:75], v[86:87], v[68:69], v[70:71]
	v_mov_b32_e32 v68, s11
	v_fma_f64 v[84:85], v[96:97], v[76:77], -v[105:106]
	v_fma_f64 v[86:87], v[98:99], v[76:77], v[78:79]
	ds_write_b128 v107, v[80:83]
	ds_write_b128 v107, v[88:91] offset:2000
	ds_write_b128 v107, v[92:95] offset:4000
	;; [unrolled: 1-line block ×4, first 2 shown]
	s_waitcnt lgkmcnt(0)
	s_barrier
	ds_read_b128 v[69:72], v107
	ds_read_b128 v[73:76], v107 offset:2000
	ds_read_b128 v[77:80], v107 offset:4000
	;; [unrolled: 1-line block ×4, first 2 shown]
	s_waitcnt lgkmcnt(0)
	v_add_f64 v[91:92], v[69:70], v[73:74]
	v_add_f64 v[93:94], v[71:72], v[75:76]
	;; [unrolled: 1-line block ×4, first 2 shown]
	v_add_f64 v[114:115], v[75:76], -v[79:80]
	v_add_f64 v[116:117], v[79:80], -v[75:76]
	;; [unrolled: 1-line block ×3, first 2 shown]
	v_add_f64 v[120:121], v[73:74], v[85:86]
	v_add_f64 v[75:76], v[75:76], v[87:88]
	v_add_f64 v[97:98], v[79:80], -v[83:84]
	v_add_f64 v[101:102], v[73:74], -v[77:78]
	;; [unrolled: 1-line block ×6, first 2 shown]
	v_add_f64 v[77:78], v[91:92], v[77:78]
	v_add_f64 v[79:80], v[93:94], v[79:80]
	v_add_f64 v[91:92], v[81:82], -v[85:86]
	v_add_f64 v[93:94], v[83:84], -v[87:88]
	v_fma_f64 v[120:121], v[120:121], -0.5, v[69:70]
	v_fma_f64 v[69:70], v[95:96], -0.5, v[69:70]
	;; [unrolled: 1-line block ×4, first 2 shown]
	v_add_f64 v[75:76], v[87:88], -v[83:84]
	v_add_f64 v[101:102], v[101:102], v[122:123]
	v_add_f64 v[91:92], v[103:104], v[91:92]
	v_add_f64 v[93:94], v[116:117], v[93:94]
	s_barrier
	v_fma_f64 v[116:117], v[118:119], s[14:15], v[69:70]
	v_fma_f64 v[122:123], v[73:74], s[8:9], v[95:96]
	;; [unrolled: 1-line block ×3, first 2 shown]
	v_add_f64 v[103:104], v[114:115], v[75:76]
	v_add_f64 v[75:76], v[77:78], v[81:82]
	;; [unrolled: 1-line block ×3, first 2 shown]
	v_fma_f64 v[79:80], v[97:98], s[8:9], v[120:121]
	v_fma_f64 v[81:82], v[112:113], s[14:15], v[71:72]
	;; [unrolled: 1-line block ×6, first 2 shown]
	v_add_f64 v[69:70], v[75:76], v[85:86]
	v_add_f64 v[71:72], v[77:78], v[87:88]
	v_fma_f64 v[75:76], v[118:119], s[16:17], v[79:80]
	v_fma_f64 v[77:78], v[73:74], s[6:7], v[81:82]
	;; [unrolled: 1-line block ×15, first 2 shown]
	ds_write_b128 v109, v[69:72]
	ds_write_b128 v109, v[81:84] offset:16
	ds_write_b128 v109, v[73:76] offset:32
	;; [unrolled: 1-line block ×4, first 2 shown]
	s_waitcnt lgkmcnt(0)
	s_barrier
	ds_read_b128 v[69:72], v107 offset:2000
	ds_read_b128 v[73:76], v107 offset:4000
	;; [unrolled: 1-line block ×4, first 2 shown]
	ds_read_b128 v[85:88], v107
	s_waitcnt lgkmcnt(4)
	v_mul_f64 v[91:92], v[34:35], v[71:72]
	v_mul_f64 v[34:35], v[34:35], v[69:70]
	s_waitcnt lgkmcnt(3)
	v_mul_f64 v[93:94], v[30:31], v[75:76]
	v_mul_f64 v[30:31], v[30:31], v[73:74]
	s_waitcnt lgkmcnt(2)
	v_mul_f64 v[95:96], v[26:27], v[79:80]
	s_waitcnt lgkmcnt(1)
	v_mul_f64 v[97:98], v[22:23], v[83:84]
	v_mul_f64 v[26:27], v[26:27], v[77:78]
	;; [unrolled: 1-line block ×3, first 2 shown]
	v_fma_f64 v[69:70], v[32:33], v[69:70], v[91:92]
	v_fma_f64 v[32:33], v[32:33], v[71:72], -v[34:35]
	v_fma_f64 v[34:35], v[28:29], v[73:74], v[93:94]
	v_fma_f64 v[28:29], v[28:29], v[75:76], -v[30:31]
	v_fma_f64 v[30:31], v[24:25], v[77:78], v[95:96]
	v_fma_f64 v[71:72], v[20:21], v[81:82], v[97:98]
	v_fma_f64 v[24:25], v[24:25], v[79:80], -v[26:27]
	v_fma_f64 v[22:23], v[20:21], v[83:84], -v[22:23]
	s_waitcnt lgkmcnt(0)
	v_add_f64 v[101:102], v[85:86], v[69:70]
	v_add_f64 v[103:104], v[87:88], v[32:33]
	v_add_f64 v[20:21], v[34:35], -v[69:70]
	v_add_f64 v[75:76], v[28:29], -v[32:33]
	v_add_f64 v[96:97], v[34:35], v[30:31]
	v_add_f64 v[26:27], v[30:31], -v[71:72]
	v_add_f64 v[79:80], v[69:70], v[71:72]
	;; [unrolled: 2-line block ×3, first 2 shown]
	v_add_f64 v[81:82], v[32:33], v[22:23]
	v_mad_u64_u32 v[89:90], s[18:19], s2, v100, 0
	v_add_f64 v[83:84], v[28:29], -v[24:25]
	v_add_f64 v[92:93], v[34:35], -v[30:31]
	v_mov_b32_e32 v73, v90
	v_add_f64 v[90:91], v[32:33], -v[22:23]
	v_add_f64 v[94:95], v[69:70], -v[71:72]
	;; [unrolled: 1-line block ×5, first 2 shown]
	v_add_f64 v[116:117], v[20:21], v[26:27]
	v_add_f64 v[75:76], v[75:76], v[77:78]
	v_fma_f64 v[20:21], v[79:80], -0.5, v[85:86]
	v_fma_f64 v[77:78], v[96:97], -0.5, v[85:86]
	;; [unrolled: 1-line block ×3, first 2 shown]
	v_add_f64 v[34:35], v[101:102], v[34:35]
	v_add_f64 v[28:29], v[103:104], v[28:29]
	v_fma_f64 v[26:27], v[81:82], -0.5, v[87:88]
	v_add_f64 v[112:113], v[71:72], -v[30:31]
	v_add_f64 v[81:82], v[32:33], v[114:115]
	v_fma_f64 v[32:33], v[83:84], s[8:9], v[20:21]
	v_fma_f64 v[20:21], v[83:84], s[14:15], v[20:21]
	v_add_f64 v[30:31], v[34:35], v[30:31]
	v_add_f64 v[24:25], v[28:29], v[24:25]
	v_fma_f64 v[28:29], v[90:91], s[14:15], v[77:78]
	v_fma_f64 v[34:35], v[90:91], s[8:9], v[77:78]
	;; [unrolled: 1-line block ×6, first 2 shown]
	v_add_f64 v[69:70], v[69:70], v[112:113]
	v_fma_f64 v[32:33], v[90:91], s[16:17], v[32:33]
	v_fma_f64 v[87:88], v[90:91], s[6:7], v[20:21]
	v_add_f64 v[20:21], v[30:31], v[71:72]
	v_fma_f64 v[30:31], v[83:84], s[16:17], v[28:29]
	v_fma_f64 v[71:72], v[92:93], s[6:7], v[77:78]
	;; [unrolled: 1-line block ×6, first 2 shown]
	v_add_f64 v[22:23], v[24:25], v[22:23]
	v_fma_f64 v[24:25], v[116:117], s[12:13], v[32:33]
	v_fma_f64 v[32:33], v[69:70], s[12:13], v[30:31]
	v_fma_f64 v[34:35], v[81:82], s[12:13], v[71:72]
	v_fma_f64 v[26:27], v[75:76], s[12:13], v[85:86]
	v_fma_f64 v[28:29], v[116:117], s[12:13], v[87:88]
	v_fma_f64 v[30:31], v[75:76], s[12:13], v[90:91]
	v_fma_f64 v[69:70], v[69:70], s[12:13], v[77:78]
	v_fma_f64 v[71:72], v[81:82], s[12:13], v[79:80]
	s_barrier
	ds_write_b128 v110, v[20:23]
	ds_write_b128 v110, v[32:35] offset:80
	ds_write_b128 v110, v[24:27] offset:160
	;; [unrolled: 1-line block ×4, first 2 shown]
	s_waitcnt lgkmcnt(0)
	s_barrier
	ds_read_b128 v[20:23], v107 offset:2000
	ds_read_b128 v[24:27], v107 offset:4000
	;; [unrolled: 1-line block ×4, first 2 shown]
	ds_read_b128 v[69:72], v107
	s_waitcnt lgkmcnt(4)
	v_mul_f64 v[75:76], v[46:47], v[22:23]
	s_waitcnt lgkmcnt(3)
	v_mul_f64 v[77:78], v[42:43], v[26:27]
	;; [unrolled: 2-line block ×4, first 2 shown]
	v_mul_f64 v[46:47], v[46:47], v[20:21]
	v_mul_f64 v[50:51], v[50:51], v[32:33]
	;; [unrolled: 1-line block ×4, first 2 shown]
	v_fma_f64 v[20:21], v[44:45], v[20:21], v[75:76]
	v_fma_f64 v[24:25], v[40:41], v[24:25], v[77:78]
	;; [unrolled: 1-line block ×4, first 2 shown]
	v_fma_f64 v[22:23], v[44:45], v[22:23], -v[46:47]
	v_fma_f64 v[34:35], v[48:49], v[34:35], -v[50:51]
	;; [unrolled: 1-line block ×4, first 2 shown]
	v_mad_u64_u32 v[105:106], s[18:19], s0, v108, 0
	v_add_f64 v[36:37], v[24:25], -v[20:21]
	v_add_f64 v[38:39], v[28:29], -v[32:33]
	v_mov_b32_e32 v74, v106
	v_mad_u64_u32 v[40:41], s[18:19], s3, v100, v[73:74]
	v_add_f64 v[41:42], v[20:21], v[32:33]
	v_add_f64 v[45:46], v[26:27], -v[22:23]
	v_add_f64 v[47:48], v[30:31], -v[34:35]
	v_add_f64 v[81:82], v[24:25], v[28:29]
	v_add_f64 v[83:84], v[26:27], v[30:31]
	s_waitcnt lgkmcnt(0)
	v_add_f64 v[85:86], v[69:70], v[20:21]
	v_add_f64 v[87:88], v[71:72], v[22:23]
	;; [unrolled: 1-line block ×3, first 2 shown]
	v_add_f64 v[49:50], v[26:27], -v[30:31]
	v_add_f64 v[75:76], v[22:23], -v[34:35]
	;; [unrolled: 1-line block ×7, first 2 shown]
	v_add_f64 v[36:37], v[36:37], v[38:39]
	v_fma_f64 v[38:39], v[41:42], -0.5, v[69:70]
	v_add_f64 v[41:42], v[45:46], v[47:48]
	v_fma_f64 v[45:46], v[81:82], -0.5, v[69:70]
	v_fma_f64 v[47:48], v[83:84], -0.5, v[71:72]
	v_add_f64 v[24:25], v[85:86], v[24:25]
	v_add_f64 v[26:27], v[87:88], v[26:27]
	v_add_f64 v[92:93], v[34:35], -v[30:31]
	v_fma_f64 v[43:44], v[43:44], -0.5, v[71:72]
	v_add_f64 v[69:70], v[20:21], v[90:91]
	v_fma_f64 v[20:21], v[49:50], s[8:9], v[38:39]
	v_fma_f64 v[38:39], v[49:50], s[14:15], v[38:39]
	v_add_f64 v[24:25], v[24:25], v[28:29]
	v_add_f64 v[26:27], v[26:27], v[30:31]
	v_fma_f64 v[28:29], v[75:76], s[14:15], v[45:46]
	v_fma_f64 v[30:31], v[75:76], s[8:9], v[45:46]
	v_fma_f64 v[45:46], v[79:80], s[8:9], v[47:48]
	v_add_f64 v[71:72], v[22:23], v[92:93]
	v_fma_f64 v[22:23], v[77:78], s[14:15], v[43:44]
	v_fma_f64 v[43:44], v[77:78], s[8:9], v[43:44]
	;; [unrolled: 1-line block ×4, first 2 shown]
	v_add_f64 v[20:21], v[24:25], v[32:33]
	v_fma_f64 v[32:33], v[49:50], s[16:17], v[28:29]
	v_fma_f64 v[45:46], v[77:78], s[6:7], v[45:46]
	;; [unrolled: 1-line block ×7, first 2 shown]
	v_add_f64 v[22:23], v[26:27], v[34:35]
	v_fma_f64 v[32:33], v[69:70], s[12:13], v[32:33]
	v_fma_f64 v[34:35], v[71:72], s[12:13], v[45:46]
	;; [unrolled: 1-line block ×8, first 2 shown]
	s_barrier
	ds_write_b128 v111, v[20:23]
	ds_write_b128 v111, v[32:35] offset:400
	ds_write_b128 v111, v[24:27] offset:800
	;; [unrolled: 1-line block ×4, first 2 shown]
	s_waitcnt lgkmcnt(0)
	s_barrier
	ds_read_b128 v[20:23], v107 offset:2000
	ds_read_b128 v[24:27], v107 offset:4000
	;; [unrolled: 1-line block ×4, first 2 shown]
	ds_read_b128 v[36:39], v107
	s_waitcnt lgkmcnt(4)
	v_mul_f64 v[41:42], v[58:59], v[22:23]
	v_mul_f64 v[43:44], v[58:59], v[20:21]
	s_waitcnt lgkmcnt(3)
	v_mul_f64 v[45:46], v[62:63], v[26:27]
	v_mul_f64 v[47:48], v[62:63], v[24:25]
	;; [unrolled: 3-line block ×4, first 2 shown]
	v_fma_f64 v[20:21], v[56:57], v[20:21], v[41:42]
	v_fma_f64 v[22:23], v[56:57], v[22:23], -v[43:44]
	v_fma_f64 v[24:25], v[60:61], v[24:25], v[45:46]
	v_fma_f64 v[26:27], v[60:61], v[26:27], -v[47:48]
	;; [unrolled: 2-line block ×3, first 2 shown]
	v_fma_f64 v[34:35], v[52:53], v[34:35], -v[58:59]
	v_fma_f64 v[32:33], v[52:53], v[32:33], v[54:55]
	v_mad_u64_u32 v[41:42], s[18:19], s1, v108, v[74:75]
	s_waitcnt lgkmcnt(0)
	v_add_f64 v[42:43], v[36:37], v[20:21]
	v_add_f64 v[60:61], v[38:39], v[22:23]
	;; [unrolled: 1-line block ×4, first 2 shown]
	v_add_f64 v[50:51], v[20:21], -v[24:25]
	v_add_f64 v[54:55], v[20:21], v[32:33]
	v_add_f64 v[56:57], v[24:25], -v[20:21]
	v_add_f64 v[64:65], v[20:21], -v[32:33]
	;; [unrolled: 1-line block ×4, first 2 shown]
	v_add_f64 v[69:70], v[22:23], v[34:35]
	v_add_f64 v[46:47], v[22:23], -v[34:35]
	v_add_f64 v[48:49], v[26:27], -v[30:31]
	v_add_f64 v[22:23], v[26:27], -v[22:23]
	v_add_f64 v[71:72], v[30:31], -v[34:35]
	v_add_f64 v[73:74], v[24:25], -v[28:29]
	v_add_f64 v[24:25], v[42:43], v[24:25]
	v_fma_f64 v[42:43], v[44:45], -0.5, v[36:37]
	v_add_f64 v[26:27], v[60:61], v[26:27]
	v_fma_f64 v[44:45], v[62:63], -0.5, v[38:39]
	v_add_f64 v[52:53], v[32:33], -v[28:29]
	v_add_f64 v[58:59], v[28:29], -v[32:33]
	v_fma_f64 v[36:37], v[54:55], -0.5, v[36:37]
	v_add_f64 v[54:55], v[20:21], v[66:67]
	v_fma_f64 v[20:21], v[69:70], -0.5, v[38:39]
	v_add_f64 v[38:39], v[22:23], v[71:72]
	v_add_f64 v[22:23], v[24:25], v[28:29]
	v_fma_f64 v[24:25], v[46:47], s[14:15], v[42:43]
	v_add_f64 v[26:27], v[26:27], v[30:31]
	v_fma_f64 v[30:31], v[64:65], s[8:9], v[44:45]
	v_add_f64 v[50:51], v[50:51], v[52:53]
	v_add_f64 v[52:53], v[56:57], v[58:59]
	v_fma_f64 v[28:29], v[46:47], s[8:9], v[42:43]
	v_fma_f64 v[42:43], v[48:49], s[8:9], v[36:37]
	;; [unrolled: 1-line block ×6, first 2 shown]
	v_add_f64 v[20:21], v[22:23], v[32:33]
	v_fma_f64 v[24:25], v[48:49], s[16:17], v[24:25]
	v_add_f64 v[22:23], v[26:27], v[34:35]
	v_fma_f64 v[26:27], v[73:74], s[6:7], v[30:31]
	v_fma_f64 v[32:33], v[46:47], s[16:17], v[42:43]
	v_fma_f64 v[30:31], v[64:65], s[6:7], v[56:57]
	v_fma_f64 v[36:37], v[46:47], s[6:7], v[36:37]
	v_fma_f64 v[42:43], v[64:65], s[16:17], v[58:59]
	v_fma_f64 v[28:29], v[48:49], s[6:7], v[28:29]
	v_fma_f64 v[44:45], v[73:74], s[16:17], v[44:45]
	v_fma_f64 v[24:25], v[50:51], s[12:13], v[24:25]
	v_fma_f64 v[26:27], v[54:55], s[12:13], v[26:27]
	v_fma_f64 v[32:33], v[52:53], s[12:13], v[32:33]
	v_fma_f64 v[34:35], v[38:39], s[12:13], v[30:31]
	v_fma_f64 v[36:37], v[52:53], s[12:13], v[36:37]
	v_fma_f64 v[38:39], v[38:39], s[12:13], v[42:43]
	v_fma_f64 v[28:29], v[50:51], s[12:13], v[28:29]
	v_fma_f64 v[30:31], v[54:55], s[12:13], v[44:45]
	ds_write_b128 v107, v[20:23]
	ds_write_b128 v107, v[24:27] offset:2000
	ds_write_b128 v107, v[32:35] offset:4000
	;; [unrolled: 1-line block ×4, first 2 shown]
	s_waitcnt lgkmcnt(0)
	s_barrier
	ds_read_b128 v[20:23], v107
	ds_read_b128 v[24:27], v107 offset:2000
	v_mov_b32_e32 v90, v40
	v_mov_b32_e32 v106, v41
	v_lshlrev_b64 v[40:41], 4, v[89:90]
	s_waitcnt lgkmcnt(1)
	v_mul_f64 v[36:37], v[2:3], v[22:23]
	v_mul_f64 v[2:3], v[2:3], v[20:21]
	s_waitcnt lgkmcnt(0)
	v_mul_f64 v[38:39], v[6:7], v[26:27]
	v_mul_f64 v[6:7], v[6:7], v[24:25]
	ds_read_b128 v[28:31], v107 offset:4000
	v_lshlrev_b64 v[42:43], 4, v[105:106]
	v_add_co_u32_e32 v32, vcc, s10, v40
	v_addc_co_u32_e32 v33, vcc, v68, v41, vcc
	v_add_co_u32_e32 v40, vcc, v32, v42
	v_addc_co_u32_e32 v41, vcc, v33, v43, vcc
	ds_read_b128 v[32:35], v107 offset:6000
	s_waitcnt lgkmcnt(1)
	v_mul_f64 v[42:43], v[10:11], v[30:31]
	v_mul_f64 v[10:11], v[10:11], v[28:29]
	v_fma_f64 v[20:21], v[0:1], v[20:21], v[36:37]
	v_fma_f64 v[22:23], v[0:1], v[22:23], -v[2:3]
	v_fma_f64 v[24:25], v[4:5], v[24:25], v[38:39]
	v_fma_f64 v[26:27], v[4:5], v[26:27], -v[6:7]
	ds_read_b128 v[0:3], v107 offset:8000
	s_mul_i32 s2, s1, 0x7d0
	s_mul_hi_u32 s11, s0, 0x7d0
	s_mulk_i32 s0, 0x7d0
	v_mul_f64 v[4:5], v[20:21], s[4:5]
	v_mul_f64 v[6:7], v[22:23], s[4:5]
	;; [unrolled: 1-line block ×3, first 2 shown]
	v_fma_f64 v[24:25], v[8:9], v[28:29], v[42:43]
	v_fma_f64 v[8:9], v[8:9], v[30:31], -v[10:11]
	s_waitcnt lgkmcnt(1)
	v_mul_f64 v[10:11], v[14:15], v[34:35]
	v_mul_f64 v[14:15], v[14:15], v[32:33]
	;; [unrolled: 1-line block ×3, first 2 shown]
	s_waitcnt lgkmcnt(0)
	v_mul_f64 v[26:27], v[18:19], v[2:3]
	v_mul_f64 v[18:19], v[18:19], v[0:1]
	s_add_i32 s2, s11, s2
	v_mov_b32_e32 v109, s2
	v_add_co_u32_e32 v36, vcc, s0, v40
	v_addc_co_u32_e32 v37, vcc, v41, v109, vcc
	global_store_dwordx4 v[40:41], v[4:7], off
	global_store_dwordx4 v[36:37], v[20:23], off
	v_mul_f64 v[6:7], v[8:9], s[4:5]
	v_fma_f64 v[8:9], v[12:13], v[32:33], v[10:11]
	v_fma_f64 v[10:11], v[12:13], v[34:35], -v[14:15]
	v_mul_f64 v[4:5], v[24:25], s[4:5]
	v_fma_f64 v[12:13], v[16:17], v[0:1], v[26:27]
	v_fma_f64 v[14:15], v[16:17], v[2:3], -v[18:19]
	v_mov_b32_e32 v20, s2
	v_add_co_u32_e32 v16, vcc, s0, v36
	v_mul_f64 v[0:1], v[8:9], s[4:5]
	v_mul_f64 v[2:3], v[10:11], s[4:5]
	v_addc_co_u32_e32 v17, vcc, v37, v20, vcc
	global_store_dwordx4 v[16:17], v[4:7], off
	v_mov_b32_e32 v9, s2
	v_mul_f64 v[4:5], v[12:13], s[4:5]
	v_mul_f64 v[6:7], v[14:15], s[4:5]
	v_add_co_u32_e32 v8, vcc, s0, v16
	v_addc_co_u32_e32 v9, vcc, v17, v9, vcc
	global_store_dwordx4 v[8:9], v[0:3], off
	s_nop 0
	v_mov_b32_e32 v1, s2
	v_add_co_u32_e32 v0, vcc, s0, v8
	v_addc_co_u32_e32 v1, vcc, v9, v1, vcc
	global_store_dwordx4 v[0:1], v[4:7], off
.LBB0_2:
	s_endpgm
	.section	.rodata,"a",@progbits
	.p2align	6, 0x0
	.amdhsa_kernel bluestein_single_fwd_len625_dim1_dp_op_CI_CI
		.amdhsa_group_segment_fixed_size 10000
		.amdhsa_private_segment_fixed_size 0
		.amdhsa_kernarg_size 104
		.amdhsa_user_sgpr_count 6
		.amdhsa_user_sgpr_private_segment_buffer 1
		.amdhsa_user_sgpr_dispatch_ptr 0
		.amdhsa_user_sgpr_queue_ptr 0
		.amdhsa_user_sgpr_kernarg_segment_ptr 1
		.amdhsa_user_sgpr_dispatch_id 0
		.amdhsa_user_sgpr_flat_scratch_init 0
		.amdhsa_user_sgpr_private_segment_size 0
		.amdhsa_uses_dynamic_stack 0
		.amdhsa_system_sgpr_private_segment_wavefront_offset 0
		.amdhsa_system_sgpr_workgroup_id_x 1
		.amdhsa_system_sgpr_workgroup_id_y 0
		.amdhsa_system_sgpr_workgroup_id_z 0
		.amdhsa_system_sgpr_workgroup_info 0
		.amdhsa_system_vgpr_workitem_id 0
		.amdhsa_next_free_vgpr 124
		.amdhsa_next_free_sgpr 20
		.amdhsa_reserve_vcc 1
		.amdhsa_reserve_flat_scratch 0
		.amdhsa_float_round_mode_32 0
		.amdhsa_float_round_mode_16_64 0
		.amdhsa_float_denorm_mode_32 3
		.amdhsa_float_denorm_mode_16_64 3
		.amdhsa_dx10_clamp 1
		.amdhsa_ieee_mode 1
		.amdhsa_fp16_overflow 0
		.amdhsa_exception_fp_ieee_invalid_op 0
		.amdhsa_exception_fp_denorm_src 0
		.amdhsa_exception_fp_ieee_div_zero 0
		.amdhsa_exception_fp_ieee_overflow 0
		.amdhsa_exception_fp_ieee_underflow 0
		.amdhsa_exception_fp_ieee_inexact 0
		.amdhsa_exception_int_div_zero 0
	.end_amdhsa_kernel
	.text
.Lfunc_end0:
	.size	bluestein_single_fwd_len625_dim1_dp_op_CI_CI, .Lfunc_end0-bluestein_single_fwd_len625_dim1_dp_op_CI_CI
                                        ; -- End function
	.section	.AMDGPU.csdata,"",@progbits
; Kernel info:
; codeLenInByte = 6932
; NumSgprs: 24
; NumVgprs: 124
; ScratchSize: 0
; MemoryBound: 0
; FloatMode: 240
; IeeeMode: 1
; LDSByteSize: 10000 bytes/workgroup (compile time only)
; SGPRBlocks: 2
; VGPRBlocks: 30
; NumSGPRsForWavesPerEU: 24
; NumVGPRsForWavesPerEU: 124
; Occupancy: 2
; WaveLimiterHint : 1
; COMPUTE_PGM_RSRC2:SCRATCH_EN: 0
; COMPUTE_PGM_RSRC2:USER_SGPR: 6
; COMPUTE_PGM_RSRC2:TRAP_HANDLER: 0
; COMPUTE_PGM_RSRC2:TGID_X_EN: 1
; COMPUTE_PGM_RSRC2:TGID_Y_EN: 0
; COMPUTE_PGM_RSRC2:TGID_Z_EN: 0
; COMPUTE_PGM_RSRC2:TIDIG_COMP_CNT: 0
	.type	__hip_cuid_edcae20bec12e8bc,@object ; @__hip_cuid_edcae20bec12e8bc
	.section	.bss,"aw",@nobits
	.globl	__hip_cuid_edcae20bec12e8bc
__hip_cuid_edcae20bec12e8bc:
	.byte	0                               ; 0x0
	.size	__hip_cuid_edcae20bec12e8bc, 1

	.ident	"AMD clang version 19.0.0git (https://github.com/RadeonOpenCompute/llvm-project roc-6.4.0 25133 c7fe45cf4b819c5991fe208aaa96edf142730f1d)"
	.section	".note.GNU-stack","",@progbits
	.addrsig
	.addrsig_sym __hip_cuid_edcae20bec12e8bc
	.amdgpu_metadata
---
amdhsa.kernels:
  - .args:
      - .actual_access:  read_only
        .address_space:  global
        .offset:         0
        .size:           8
        .value_kind:     global_buffer
      - .actual_access:  read_only
        .address_space:  global
        .offset:         8
        .size:           8
        .value_kind:     global_buffer
      - .actual_access:  read_only
        .address_space:  global
        .offset:         16
        .size:           8
        .value_kind:     global_buffer
      - .actual_access:  read_only
        .address_space:  global
        .offset:         24
        .size:           8
        .value_kind:     global_buffer
      - .actual_access:  read_only
        .address_space:  global
        .offset:         32
        .size:           8
        .value_kind:     global_buffer
      - .offset:         40
        .size:           8
        .value_kind:     by_value
      - .address_space:  global
        .offset:         48
        .size:           8
        .value_kind:     global_buffer
      - .address_space:  global
        .offset:         56
        .size:           8
        .value_kind:     global_buffer
      - .address_space:  global
        .offset:         64
        .size:           8
        .value_kind:     global_buffer
      - .address_space:  global
        .offset:         72
        .size:           8
        .value_kind:     global_buffer
      - .offset:         80
        .size:           4
        .value_kind:     by_value
      - .address_space:  global
        .offset:         88
        .size:           8
        .value_kind:     global_buffer
      - .address_space:  global
        .offset:         96
        .size:           8
        .value_kind:     global_buffer
    .group_segment_fixed_size: 10000
    .kernarg_segment_align: 8
    .kernarg_segment_size: 104
    .language:       OpenCL C
    .language_version:
      - 2
      - 0
    .max_flat_workgroup_size: 125
    .name:           bluestein_single_fwd_len625_dim1_dp_op_CI_CI
    .private_segment_fixed_size: 0
    .sgpr_count:     24
    .sgpr_spill_count: 0
    .symbol:         bluestein_single_fwd_len625_dim1_dp_op_CI_CI.kd
    .uniform_work_group_size: 1
    .uses_dynamic_stack: false
    .vgpr_count:     124
    .vgpr_spill_count: 0
    .wavefront_size: 64
amdhsa.target:   amdgcn-amd-amdhsa--gfx906
amdhsa.version:
  - 1
  - 2
...

	.end_amdgpu_metadata
